;; amdgpu-corpus repo=ROCm/rocFFT kind=compiled arch=gfx1030 opt=O3
	.text
	.amdgcn_target "amdgcn-amd-amdhsa--gfx1030"
	.amdhsa_code_object_version 6
	.protected	fft_rtc_back_len176_factors_11_16_wgs_64_tpt_16_halfLds_half_ip_CI_sbrr_dirReg ; -- Begin function fft_rtc_back_len176_factors_11_16_wgs_64_tpt_16_halfLds_half_ip_CI_sbrr_dirReg
	.globl	fft_rtc_back_len176_factors_11_16_wgs_64_tpt_16_halfLds_half_ip_CI_sbrr_dirReg
	.p2align	8
	.type	fft_rtc_back_len176_factors_11_16_wgs_64_tpt_16_halfLds_half_ip_CI_sbrr_dirReg,@function
fft_rtc_back_len176_factors_11_16_wgs_64_tpt_16_halfLds_half_ip_CI_sbrr_dirReg: ; @fft_rtc_back_len176_factors_11_16_wgs_64_tpt_16_halfLds_half_ip_CI_sbrr_dirReg
; %bb.0:
	s_clause 0x2
	s_load_dwordx2 s[14:15], s[4:5], 0x18
	s_load_dwordx4 s[8:11], s[4:5], 0x0
	s_load_dwordx2 s[12:13], s[4:5], 0x50
	v_lshrrev_b32_e32 v11, 4, v0
	v_mov_b32_e32 v3, 0
	v_mov_b32_e32 v1, 0
	;; [unrolled: 1-line block ×3, first 2 shown]
	v_lshl_or_b32 v5, s6, 2, v11
	v_mov_b32_e32 v6, v3
	s_waitcnt lgkmcnt(0)
	s_load_dwordx2 s[2:3], s[14:15], 0x0
	v_cmp_lt_u64_e64 s0, s[10:11], 2
	s_and_b32 vcc_lo, exec_lo, s0
	s_cbranch_vccnz .LBB0_8
; %bb.1:
	s_load_dwordx2 s[0:1], s[4:5], 0x10
	v_mov_b32_e32 v1, 0
	s_add_u32 s6, s14, 8
	v_mov_b32_e32 v2, 0
	s_addc_u32 s7, s15, 0
	s_mov_b64 s[18:19], 1
	s_waitcnt lgkmcnt(0)
	s_add_u32 s16, s0, 8
	s_addc_u32 s17, s1, 0
.LBB0_2:                                ; =>This Inner Loop Header: Depth=1
	s_load_dwordx2 s[20:21], s[16:17], 0x0
                                        ; implicit-def: $vgpr7_vgpr8
	s_mov_b32 s0, exec_lo
	s_waitcnt lgkmcnt(0)
	v_or_b32_e32 v4, s21, v6
	v_cmpx_ne_u64_e32 0, v[3:4]
	s_xor_b32 s1, exec_lo, s0
	s_cbranch_execz .LBB0_4
; %bb.3:                                ;   in Loop: Header=BB0_2 Depth=1
	v_cvt_f32_u32_e32 v4, s20
	v_cvt_f32_u32_e32 v7, s21
	s_sub_u32 s0, 0, s20
	s_subb_u32 s22, 0, s21
	v_fmac_f32_e32 v4, 0x4f800000, v7
	v_rcp_f32_e32 v4, v4
	v_mul_f32_e32 v4, 0x5f7ffffc, v4
	v_mul_f32_e32 v7, 0x2f800000, v4
	v_trunc_f32_e32 v7, v7
	v_fmac_f32_e32 v4, 0xcf800000, v7
	v_cvt_u32_f32_e32 v7, v7
	v_cvt_u32_f32_e32 v4, v4
	v_mul_lo_u32 v8, s0, v7
	v_mul_hi_u32 v9, s0, v4
	v_mul_lo_u32 v10, s22, v4
	v_add_nc_u32_e32 v8, v9, v8
	v_mul_lo_u32 v9, s0, v4
	v_add_nc_u32_e32 v8, v8, v10
	v_mul_hi_u32 v10, v4, v9
	v_mul_lo_u32 v12, v4, v8
	v_mul_hi_u32 v13, v4, v8
	v_mul_hi_u32 v14, v7, v9
	v_mul_lo_u32 v9, v7, v9
	v_mul_hi_u32 v15, v7, v8
	v_mul_lo_u32 v8, v7, v8
	v_add_co_u32 v10, vcc_lo, v10, v12
	v_add_co_ci_u32_e32 v12, vcc_lo, 0, v13, vcc_lo
	v_add_co_u32 v9, vcc_lo, v10, v9
	v_add_co_ci_u32_e32 v9, vcc_lo, v12, v14, vcc_lo
	v_add_co_ci_u32_e32 v10, vcc_lo, 0, v15, vcc_lo
	v_add_co_u32 v8, vcc_lo, v9, v8
	v_add_co_ci_u32_e32 v9, vcc_lo, 0, v10, vcc_lo
	v_add_co_u32 v4, vcc_lo, v4, v8
	v_add_co_ci_u32_e32 v7, vcc_lo, v7, v9, vcc_lo
	v_mul_hi_u32 v8, s0, v4
	v_mul_lo_u32 v10, s22, v4
	v_mul_lo_u32 v9, s0, v7
	v_add_nc_u32_e32 v8, v8, v9
	v_mul_lo_u32 v9, s0, v4
	v_add_nc_u32_e32 v8, v8, v10
	v_mul_hi_u32 v10, v4, v9
	v_mul_lo_u32 v12, v4, v8
	v_mul_hi_u32 v13, v4, v8
	v_mul_hi_u32 v14, v7, v9
	v_mul_lo_u32 v9, v7, v9
	v_mul_hi_u32 v15, v7, v8
	v_mul_lo_u32 v8, v7, v8
	v_add_co_u32 v10, vcc_lo, v10, v12
	v_add_co_ci_u32_e32 v12, vcc_lo, 0, v13, vcc_lo
	v_add_co_u32 v9, vcc_lo, v10, v9
	v_add_co_ci_u32_e32 v9, vcc_lo, v12, v14, vcc_lo
	v_add_co_ci_u32_e32 v10, vcc_lo, 0, v15, vcc_lo
	v_add_co_u32 v8, vcc_lo, v9, v8
	v_add_co_ci_u32_e32 v9, vcc_lo, 0, v10, vcc_lo
	v_add_co_u32 v4, vcc_lo, v4, v8
	v_add_co_ci_u32_e32 v12, vcc_lo, v7, v9, vcc_lo
	v_mul_hi_u32 v14, v5, v4
	v_mad_u64_u32 v[9:10], null, v6, v4, 0
	v_mad_u64_u32 v[7:8], null, v5, v12, 0
	;; [unrolled: 1-line block ×3, first 2 shown]
	v_add_co_u32 v4, vcc_lo, v14, v7
	v_add_co_ci_u32_e32 v7, vcc_lo, 0, v8, vcc_lo
	v_add_co_u32 v4, vcc_lo, v4, v9
	v_add_co_ci_u32_e32 v4, vcc_lo, v7, v10, vcc_lo
	v_add_co_ci_u32_e32 v7, vcc_lo, 0, v13, vcc_lo
	v_add_co_u32 v4, vcc_lo, v4, v12
	v_add_co_ci_u32_e32 v9, vcc_lo, 0, v7, vcc_lo
	v_mul_lo_u32 v10, s21, v4
	v_mad_u64_u32 v[7:8], null, s20, v4, 0
	v_mul_lo_u32 v12, s20, v9
	v_sub_co_u32 v7, vcc_lo, v5, v7
	v_add3_u32 v8, v8, v12, v10
	v_sub_nc_u32_e32 v10, v6, v8
	v_subrev_co_ci_u32_e64 v10, s0, s21, v10, vcc_lo
	v_add_co_u32 v12, s0, v4, 2
	v_add_co_ci_u32_e64 v13, s0, 0, v9, s0
	v_sub_co_u32 v14, s0, v7, s20
	v_sub_co_ci_u32_e32 v8, vcc_lo, v6, v8, vcc_lo
	v_subrev_co_ci_u32_e64 v10, s0, 0, v10, s0
	v_cmp_le_u32_e32 vcc_lo, s20, v14
	v_cmp_eq_u32_e64 s0, s21, v8
	v_cndmask_b32_e64 v14, 0, -1, vcc_lo
	v_cmp_le_u32_e32 vcc_lo, s21, v10
	v_cndmask_b32_e64 v15, 0, -1, vcc_lo
	v_cmp_le_u32_e32 vcc_lo, s20, v7
	;; [unrolled: 2-line block ×3, first 2 shown]
	v_cndmask_b32_e64 v16, 0, -1, vcc_lo
	v_cmp_eq_u32_e32 vcc_lo, s21, v10
	v_cndmask_b32_e64 v7, v16, v7, s0
	v_cndmask_b32_e32 v10, v15, v14, vcc_lo
	v_add_co_u32 v14, vcc_lo, v4, 1
	v_add_co_ci_u32_e32 v15, vcc_lo, 0, v9, vcc_lo
	v_cmp_ne_u32_e32 vcc_lo, 0, v10
	v_cndmask_b32_e32 v8, v15, v13, vcc_lo
	v_cndmask_b32_e32 v10, v14, v12, vcc_lo
	v_cmp_ne_u32_e32 vcc_lo, 0, v7
	v_cndmask_b32_e32 v8, v9, v8, vcc_lo
	v_cndmask_b32_e32 v7, v4, v10, vcc_lo
.LBB0_4:                                ;   in Loop: Header=BB0_2 Depth=1
	s_andn2_saveexec_b32 s0, s1
	s_cbranch_execz .LBB0_6
; %bb.5:                                ;   in Loop: Header=BB0_2 Depth=1
	v_cvt_f32_u32_e32 v4, s20
	s_sub_i32 s1, 0, s20
	v_rcp_iflag_f32_e32 v4, v4
	v_mul_f32_e32 v4, 0x4f7ffffe, v4
	v_cvt_u32_f32_e32 v4, v4
	v_mul_lo_u32 v7, s1, v4
	v_mul_hi_u32 v7, v4, v7
	v_add_nc_u32_e32 v4, v4, v7
	v_mul_hi_u32 v4, v5, v4
	v_mul_lo_u32 v7, v4, s20
	v_add_nc_u32_e32 v8, 1, v4
	v_sub_nc_u32_e32 v7, v5, v7
	v_subrev_nc_u32_e32 v9, s20, v7
	v_cmp_le_u32_e32 vcc_lo, s20, v7
	v_cndmask_b32_e32 v7, v7, v9, vcc_lo
	v_cndmask_b32_e32 v4, v4, v8, vcc_lo
	v_cmp_le_u32_e32 vcc_lo, s20, v7
	v_add_nc_u32_e32 v8, 1, v4
	v_cndmask_b32_e32 v7, v4, v8, vcc_lo
	v_mov_b32_e32 v8, v3
.LBB0_6:                                ;   in Loop: Header=BB0_2 Depth=1
	s_or_b32 exec_lo, exec_lo, s0
	s_load_dwordx2 s[0:1], s[6:7], 0x0
	v_mul_lo_u32 v4, v8, s20
	v_mul_lo_u32 v12, v7, s21
	v_mad_u64_u32 v[9:10], null, v7, s20, 0
	s_add_u32 s18, s18, 1
	s_addc_u32 s19, s19, 0
	s_add_u32 s6, s6, 8
	s_addc_u32 s7, s7, 0
	;; [unrolled: 2-line block ×3, first 2 shown]
	v_add3_u32 v4, v10, v12, v4
	v_sub_co_u32 v5, vcc_lo, v5, v9
	v_sub_co_ci_u32_e32 v4, vcc_lo, v6, v4, vcc_lo
	s_waitcnt lgkmcnt(0)
	v_mul_lo_u32 v6, s1, v5
	v_mul_lo_u32 v4, s0, v4
	v_mad_u64_u32 v[1:2], null, s0, v5, v[1:2]
	v_cmp_ge_u64_e64 s0, s[18:19], s[10:11]
	s_and_b32 vcc_lo, exec_lo, s0
	v_add3_u32 v2, v6, v2, v4
	s_cbranch_vccnz .LBB0_9
; %bb.7:                                ;   in Loop: Header=BB0_2 Depth=1
	v_mov_b32_e32 v5, v7
	v_mov_b32_e32 v6, v8
	s_branch .LBB0_2
.LBB0_8:
	v_mov_b32_e32 v8, v6
	v_mov_b32_e32 v7, v5
.LBB0_9:
	s_lshl_b64 s[0:1], s[10:11], 3
	v_and_b32_e32 v10, 15, v0
	s_add_u32 s0, s14, s0
	s_addc_u32 s1, s15, s1
                                        ; implicit-def: $vgpr34
                                        ; implicit-def: $vgpr31
                                        ; implicit-def: $vgpr32
                                        ; implicit-def: $vgpr28
                                        ; implicit-def: $vgpr29
                                        ; implicit-def: $vgpr26
                                        ; implicit-def: $vgpr27
                                        ; implicit-def: $vgpr25
                                        ; implicit-def: $vgpr5
                                        ; implicit-def: $vgpr20
                                        ; implicit-def: $vgpr6
                                        ; implicit-def: $vgpr24
                                        ; implicit-def: $vgpr30
                                        ; implicit-def: $vgpr23
                                        ; implicit-def: $vgpr33
                                        ; implicit-def: $vgpr22
                                        ; implicit-def: $vgpr35
                                        ; implicit-def: $vgpr21
                                        ; implicit-def: $vgpr36
	s_load_dwordx2 s[0:1], s[0:1], 0x0
	s_load_dwordx2 s[4:5], s[4:5], 0x20
	s_waitcnt lgkmcnt(0)
	v_mul_lo_u32 v3, s0, v8
	v_mul_lo_u32 v4, s1, v7
	v_mad_u64_u32 v[1:2], null, s0, v7, v[1:2]
	v_cmp_gt_u64_e32 vcc_lo, s[4:5], v[7:8]
                                        ; implicit-def: $vgpr7
	v_add3_u32 v2, v4, v2, v3
	v_mov_b32_e32 v4, 0
	v_lshlrev_b64 v[8:9], 2, v[1:2]
	s_and_saveexec_b32 s1, vcc_lo
	s_cbranch_execz .LBB0_11
; %bb.10:
	v_or_b32_e32 v7, 16, v10
	v_mad_u64_u32 v[0:1], null, s2, v10, 0
	v_or_b32_e32 v15, 32, v10
	v_or_b32_e32 v17, 48, v10
	v_mad_u64_u32 v[2:3], null, s2, v7, 0
	v_or_b32_e32 v20, 0x50, v10
	v_or_b32_e32 v22, 0x60, v10
	;; [unrolled: 1-line block ×4, first 2 shown]
	v_add_co_u32 v31, s0, s12, v8
	v_mad_u64_u32 v[4:5], null, s3, v10, v[1:2]
	v_mad_u64_u32 v[5:6], null, s2, v15, 0
	v_add_co_ci_u32_e64 v32, s0, s13, v9, s0
	v_or_b32_e32 v33, 0x90, v10
	v_or_b32_e32 v34, 0xa0, v10
	v_mad_u64_u32 v[12:13], null, s3, v7, v[3:4]
	v_mov_b32_e32 v1, v4
	v_mov_b32_e32 v4, v6
	v_mad_u64_u32 v[13:14], null, s2, v17, 0
	v_lshlrev_b64 v[0:1], 2, v[0:1]
	v_mad_u64_u32 v[6:7], null, s3, v15, v[4:5]
	v_or_b32_e32 v7, 64, v10
	v_mov_b32_e32 v3, v12
	v_mov_b32_e32 v4, v14
	v_add_co_u32 v0, s0, v31, v0
	v_mad_u64_u32 v[15:16], null, s2, v7, 0
	v_mad_u64_u32 v[17:18], null, s3, v17, v[4:5]
	v_lshlrev_b64 v[4:5], 2, v[5:6]
	v_mad_u64_u32 v[18:19], null, s2, v20, 0
	v_lshlrev_b64 v[2:3], 2, v[2:3]
	v_mov_b32_e32 v6, v16
	v_add_co_ci_u32_e64 v1, s0, v32, v1, s0
	v_mov_b32_e32 v14, v17
	v_mad_u64_u32 v[6:7], null, s3, v7, v[6:7]
	v_mov_b32_e32 v7, v19
	v_lshlrev_b64 v[12:13], 2, v[13:14]
	v_add_co_u32 v2, s0, v31, v2
	v_add_co_ci_u32_e64 v3, s0, v32, v3, s0
	v_mov_b32_e32 v16, v6
	v_mad_u64_u32 v[6:7], null, s3, v20, v[7:8]
	v_mad_u64_u32 v[20:21], null, s2, v22, 0
	v_lshlrev_b64 v[14:15], 2, v[15:16]
	v_mad_u64_u32 v[16:17], null, s2, v24, 0
	v_add_co_u32 v4, s0, v31, v4
	v_mov_b32_e32 v19, v6
	v_mov_b32_e32 v6, v21
	v_add_co_ci_u32_e64 v5, s0, v32, v5, s0
	v_add_co_u32 v12, s0, v31, v12
	v_mad_u64_u32 v[6:7], null, s3, v22, v[6:7]
	v_mad_u64_u32 v[22:23], null, s2, v26, 0
	v_mov_b32_e32 v7, v17
	v_lshlrev_b64 v[17:18], 2, v[18:19]
	v_add_co_ci_u32_e64 v13, s0, v32, v13, s0
	v_mov_b32_e32 v21, v6
	v_mad_u64_u32 v[6:7], null, s3, v24, v[7:8]
	v_mov_b32_e32 v7, v23
	v_mad_u64_u32 v[24:25], null, s2, v33, 0
	v_add_co_u32 v14, s0, v31, v14
	v_mad_u64_u32 v[26:27], null, s3, v26, v[7:8]
	v_mad_u64_u32 v[27:28], null, s2, v34, 0
	v_mov_b32_e32 v7, v25
	v_add_co_ci_u32_e64 v15, s0, v32, v15, s0
	v_add_co_u32 v29, s0, v31, v17
	v_mov_b32_e32 v17, v6
	v_mad_u64_u32 v[6:7], null, s3, v33, v[7:8]
	v_mov_b32_e32 v7, v28
	v_add_co_ci_u32_e64 v30, s0, v32, v18, s0
	v_lshlrev_b64 v[18:19], 2, v[20:21]
	v_mov_b32_e32 v23, v26
	v_mad_u64_u32 v[20:21], null, s3, v34, v[7:8]
	v_lshlrev_b64 v[16:17], 2, v[16:17]
	v_mov_b32_e32 v25, v6
	v_add_co_u32 v18, s0, v31, v18
	v_lshlrev_b64 v[21:22], 2, v[22:23]
	v_add_co_ci_u32_e64 v19, s0, v32, v19, s0
	v_add_co_u32 v16, s0, v31, v16
	v_mov_b32_e32 v28, v20
	v_add_co_ci_u32_e64 v17, s0, v32, v17, s0
	v_lshlrev_b64 v[6:7], 2, v[24:25]
	v_add_co_u32 v20, s0, v31, v21
	v_add_co_ci_u32_e64 v21, s0, v32, v22, s0
	v_lshlrev_b64 v[22:23], 2, v[27:28]
	v_add_co_u32 v34, s0, v31, v6
	v_add_co_ci_u32_e64 v35, s0, v32, v7, s0
	v_add_co_u32 v22, s0, v31, v22
	v_add_co_ci_u32_e64 v23, s0, v32, v23, s0
	s_clause 0xa
	global_load_dword v31, v[2:3], off
	global_load_dword v28, v[4:5], off
	;; [unrolled: 1-line block ×11, first 2 shown]
	s_waitcnt vmcnt(10)
	v_lshrrev_b32_e32 v34, 16, v31
	s_waitcnt vmcnt(9)
	v_lshrrev_b32_e32 v32, 16, v28
	;; [unrolled: 2-line block ×10, first 2 shown]
.LBB0_11:
	s_or_b32 exec_lo, exec_lo, s1
	s_waitcnt vmcnt(0)
	v_add_f16_e32 v0, v31, v4
	v_add_f16_e32 v1, v31, v36
	v_sub_f16_e32 v2, v34, v21
	v_mul_u32_u24_e32 v15, 0xb0, v11
	v_add_f16_e32 v3, v28, v35
	v_add_f16_e32 v0, v28, v0
	v_sub_f16_e32 v13, v32, v22
	v_mul_f16_e32 v37, 0xbbad, v1
	v_pk_mul_f16 v11, 0xbb47b853, v2 op_sel_hi:[1,0]
	v_add_f16_e32 v14, v26, v33
	v_add_f16_e32 v0, v26, v0
	v_sub_f16_e32 v16, v29, v23
	v_mul_f16_e32 v39, 0x3abb, v3
	v_pk_mul_f16 v12, 0xba0cbb47, v13 op_sel_hi:[1,0]
	v_fmamk_f16 v47, v2, 0xb482, v37
	v_add_f16_e32 v0, v25, v0
	v_pk_fma_f16 v48, 0x36a63abb, v1, v11 op_sel_hi:[1,0,1]
	v_sub_f16_e32 v18, v27, v24
	v_mul_f16_e32 v41, 0xb93d, v14
	v_pk_mul_f16 v45, 0x3482bbeb, v16 op_sel_hi:[1,0]
	v_add_f16_e32 v0, v5, v0
	v_fmamk_f16 v49, v13, 0x3853, v39
	v_pk_fma_f16 v50, 0xb93d36a6, v3, v12 op_sel_hi:[1,0,1]
	v_add_f16_e32 v47, v47, v4
	v_pk_add_f16 v48, v48, v4 op_sel_hi:[1,0]
	v_add_f16_e32 v0, v6, v0
	v_add_f16_e32 v17, v25, v30
	v_sub_f16_e32 v19, v7, v20
	v_pk_mul_f16 v46, 0x3bebba0c, v18 op_sel_hi:[1,0]
	v_fmamk_f16 v51, v16, 0xba0c, v41
	v_add_f16_e32 v0, v30, v0
	v_pk_fma_f16 v52, 0xbbadb08e, v14, v45 op_sel_hi:[1,0,1]
	v_add_f16_e32 v47, v49, v47
	v_pk_add_f16 v48, v50, v48
	v_pk_fma_f16 v49, 0xb08eb93d, v17, v46 op_sel_hi:[1,0,1]
	v_add_f16_e32 v0, v33, v0
	v_pk_fma_f16 v50, 0x36a63abb, v1, v11 op_sel_hi:[1,0,1] neg_lo:[0,0,1] neg_hi:[0,0,1]
	v_add_f16_e32 v47, v51, v47
	v_pk_add_f16 v48, v52, v48
	v_pk_mul_f16 v51, 0x3853b482, v19 op_sel_hi:[1,0]
	v_add_f16_e32 v0, v35, v0
	v_pk_mul_f16 v1, 0xb93db08e, v1 op_sel_hi:[1,0]
	v_mul_f16_e32 v38, 0xb482, v2
	v_mul_f16_e32 v43, 0x36a6, v17
	v_pk_add_f16 v48, v49, v48
	v_add_f16_e32 v11, v36, v0
	v_add_f16_e32 v0, v5, v6
	v_pk_add_f16 v49, v50, v4 op_sel_hi:[1,0]
	v_pk_fma_f16 v12, 0xb93d36a6, v3, v12 op_sel_hi:[1,0,1] neg_lo:[0,0,1] neg_hi:[0,0,1]
	v_pk_mul_f16 v53, 0xba0cbbeb, v2 op_sel_hi:[1,0]
	v_pk_mul_f16 v3, 0xb08ebbad, v3 op_sel_hi:[1,0]
	v_pk_fma_f16 v50, 0x3abbbbad, v0, v51 op_sel_hi:[1,0,1]
	v_pk_fma_f16 v2, 0xba0cbbeb, v2, v1 op_sel_hi:[1,0,1]
	v_mul_f16_e32 v40, 0x3853, v13
	v_fmamk_f16 v52, v18, 0x3b47, v43
	v_pk_add_f16 v49, v12, v49
	v_pk_fma_f16 v45, 0xbbadb08e, v14, v45 op_sel_hi:[1,0,1] neg_lo:[0,0,1] neg_hi:[0,0,1]
	v_pk_add_f16 v12, v50, v48
	v_sub_f16_e32 v48, v1, v53
	v_pk_mul_f16 v50, 0x3beb3482, v13 op_sel_hi:[1,0]
	v_pk_mul_f16 v14, 0x3abb36a6, v14 op_sel_hi:[1,0]
	v_pk_add_f16 v2, v2, v4 op_sel_hi:[1,0]
	v_pk_fma_f16 v13, 0x3beb3482, v13, v3 op_sel_hi:[1,0,1]
	v_bfi_b32 v1, 0xffff, v37, v1
	v_bfi_b32 v37, 0xffff, v38, v53
	v_mul_f16_e32 v42, 0xba0c, v16
	v_add_f16_e32 v47, v52, v47
	v_pk_add_f16 v45, v45, v49
	v_pk_fma_f16 v46, 0xb08eb93d, v17, v46 op_sel_hi:[1,0,1] neg_lo:[0,0,1] neg_hi:[0,0,1]
	v_add_f16_e32 v48, v48, v4
	v_sub_f16_e32 v49, v3, v50
	v_pk_mul_f16 v52, 0xb8533b47, v16 op_sel_hi:[1,0]
	v_pk_add_f16 v2, v13, v2
	v_pk_fma_f16 v13, 0xb8533b47, v16, v14 op_sel_hi:[1,0,1]
	v_pk_mul_f16 v16, 0xbbad3abb, v17 op_sel_hi:[1,0]
	v_pk_add_f16 v1, v1, v37 neg_lo:[0,1] neg_hi:[0,1]
	v_bfi_b32 v3, 0xffff, v39, v3
	v_bfi_b32 v17, 0xffff, v40, v50
	v_mul_f16_e32 v44, 0x3b47, v18
	v_pk_add_f16 v45, v46, v45
	v_add_f16_e32 v46, v49, v48
	v_sub_f16_e32 v48, v14, v52
	v_pk_add_f16 v2, v13, v2
	v_pk_mul_f16 v13, 0xb482b853, v18 op_sel_hi:[1,0]
	v_pk_fma_f16 v18, 0xb482b853, v18, v16 op_sel_hi:[1,0,1]
	v_pk_add_f16 v1, v1, v4 op_sel_hi:[1,0]
	v_pk_add_f16 v3, v3, v17 neg_lo:[0,1] neg_hi:[0,1]
	v_bfi_b32 v14, 0xffff, v41, v14
	v_bfi_b32 v17, 0xffff, v42, v52
	v_pk_fma_f16 v49, 0x3abbbbad, v0, v51 op_sel_hi:[1,0,1] neg_lo:[0,0,1] neg_hi:[0,0,1]
	v_pk_add_f16 v2, v18, v2
	v_pk_mul_f16 v37, 0x36a6b93d, v0 op_sel_hi:[1,0]
	v_pk_mul_f16 v39, 0x3b47ba0c, v19 op_sel_hi:[1,0]
	v_pk_add_f16 v1, v3, v1
	v_pk_add_f16 v3, v14, v17 neg_lo:[0,1] neg_hi:[0,1]
	v_bfi_b32 v14, 0xffff, v43, v16
	v_bfi_b32 v17, 0xffff, v44, v13
	v_mul_f16_e32 v0, 0xb08e, v0
	v_mul_f16_e32 v18, 0xbbeb, v19
	v_pk_fma_f16 v40, 0x3b47ba0c, v19, v37 op_sel_hi:[1,0,1]
	v_pk_add_f16 v1, v3, v1
	v_pk_add_f16 v3, v14, v17 neg_lo:[0,1] neg_hi:[0,1]
	v_bfi_b32 v14, 0xffff, v0, v37
	v_bfi_b32 v17, 0xffff, v18, v39
	v_fmamk_f16 v0, v19, 0xbbeb, v0
	v_add_f16_e32 v38, v48, v46
	v_sub_f16_e32 v16, v16, v13
	v_pk_add_f16 v13, v40, v2
	v_pk_add_f16 v1, v3, v1
	v_pk_add_f16 v2, v14, v17 neg_lo:[0,1] neg_hi:[0,1]
	v_mad_u32_u24 v40, v10, 22, 0
	v_add_f16_e32 v18, v0, v47
	v_add_f16_e32 v16, v16, v38
	v_sub_f16_e32 v17, v37, v39
	v_pk_add_f16 v3, v2, v1
	v_lshl_add_u32 v39, v15, 1, v40
	v_alignbit_b32 v2, v18, v13, 16
	v_alignbit_b32 v1, v13, v12, 16
	v_pack_b32_f16 v0, v11, v12
	v_pk_add_f16 v14, v49, v45
	v_add_f16_e32 v19, v17, v16
	v_cmp_gt_u32_e64 s0, 11, v10
	v_lshlrev_b32_e32 v37, 1, v15
	ds_write_b128 v39, v[0:3]
	v_alignbit_b32 v0, v14, v14, 16
	v_lshlrev_b32_e32 v38, 1, v10
	ds_write_b16 v39, v19 offset:16
                                        ; implicit-def: $vgpr17
                                        ; implicit-def: $vgpr16
                                        ; implicit-def: $vgpr1
                                        ; implicit-def: $vgpr2
                                        ; implicit-def: $vgpr15
	ds_write_b32 v39, v0 offset:18
	s_waitcnt lgkmcnt(0)
	s_barrier
	buffer_gl0_inv
	s_and_saveexec_b32 s1, s0
	s_cbranch_execz .LBB0_13
; %bb.12:
	v_mul_i32_i24_e32 v0, 0xffffffec, v10
	v_add3_u32 v1, 0, v37, v38
	v_add3_u32 v0, v40, v0, v37
	ds_read_u16 v12, v0 offset:22
	ds_read_u16 v13, v0 offset:66
	;; [unrolled: 1-line block ×4, first 2 shown]
	ds_read_u16 v11, v1
	ds_read_u16 v18, v0 offset:110
	ds_read_u16 v19, v0 offset:176
	;; [unrolled: 1-line block ×3, first 2 shown]
	s_waitcnt lgkmcnt(7)
	ds_read_u16_d16_hi v12, v0 offset:44
	s_waitcnt lgkmcnt(7)
	ds_read_u16_d16_hi v13, v0 offset:88
	;; [unrolled: 2-line block ×3, first 2 shown]
	ds_read_u16 v16, v0 offset:264
	ds_read_u16 v15, v0 offset:330
	s_waitcnt lgkmcnt(9)
	ds_read_u16_d16_hi v3, v0 offset:154
	ds_read_u16 v17, v0 offset:242
	ds_read_u16 v2, v0 offset:308
.LBB0_13:
	s_or_b32 exec_lo, exec_lo, s1
	v_add_f16_sdwa v0, v34, v4 dst_sel:DWORD dst_unused:UNUSED_PAD src0_sel:DWORD src1_sel:WORD_1
	v_sub_f16_e32 v31, v31, v36
	v_add_f16_e32 v34, v34, v21
	v_sub_f16_e32 v28, v28, v35
	v_sub_f16_e32 v25, v25, v30
	v_add_f16_e32 v0, v32, v0
	v_mul_f16_e32 v30, 0xb482, v31
	v_add_f16_e32 v36, v32, v22
	v_mul_f16_e32 v40, 0x3853, v28
	v_pk_mul_f16 v44, 0xbb47bbeb, v31 op_sel_hi:[1,0]
	v_add_f16_e32 v0, v29, v0
	v_fmamk_f16 v47, v34, 0xbbad, v30
	v_sub_f16_e32 v26, v26, v33
	v_pk_mul_f16 v45, 0xba0c3482, v28 op_sel_hi:[1,0]
	v_fmamk_f16 v49, v36, 0x3abb, v40
	v_add_f16_e32 v0, v27, v0
	v_add_f16_sdwa v47, v47, v4 dst_sel:DWORD dst_unused:UNUSED_PAD src0_sel:DWORD src1_sel:WORD_1
	v_pk_fma_f16 v51, 0x36a6b08e, v34, v44 op_sel_hi:[1,0,1]
	v_add_f16_e32 v32, v29, v23
	v_pk_mul_f16 v46, 0x34823b47, v26 op_sel_hi:[1,0]
	v_add_f16_e32 v0, v7, v0
	v_pk_fma_f16 v52, 0xb93dbbad, v36, v45 op_sel_hi:[1,0,1]
	v_add_f16_e32 v47, v49, v47
	v_pk_add_f16 v49, v51, v4 op_sel:[0,1]
	v_pk_fma_f16 v44, 0x36a6b08e, v34, v44 op_sel_hi:[1,0,1] neg_lo:[0,0,1] neg_hi:[0,0,1]
	v_add_f16_e32 v0, v20, v0
	v_add_f16_e32 v33, v27, v24
	v_pk_mul_f16 v48, 0x3bebb853, v25 op_sel_hi:[1,0]
	v_add_f16_e32 v7, v7, v20
	v_pk_add_f16 v44, v44, v4 op_sel:[0,1]
	v_add_f16_e32 v0, v24, v0
	v_pk_mul_f16 v31, 0xba0cb853, v31 op_sel_hi:[1,0]
	v_sub_f16_e32 v5, v5, v6
	v_mul_f16_e32 v29, 0xbbad, v34
	v_mul_f16_e32 v41, 0xba0c, v26
	v_add_f16_e32 v0, v23, v0
	v_pk_fma_f16 v23, 0xbbad36a6, v32, v46 op_sel_hi:[1,0,1]
	v_pk_mul_f16 v26, 0xb853bbeb, v26 op_sel_hi:[1,0]
	v_mul_f16_e32 v35, 0x3abb, v36
	v_mul_f16_e32 v43, 0x3b47, v25
	v_add_f16_e32 v0, v22, v0
	v_pk_fma_f16 v22, 0xb93dbbad, v36, v45 op_sel_hi:[1,0,1] neg_lo:[0,0,1] neg_hi:[0,0,1]
	v_pk_add_f16 v45, v52, v49
	v_pk_mul_f16 v25, 0xb482ba0c, v25 op_sel_hi:[1,0]
	v_alignbit_b32 v30, v30, v31, 16
	v_add_f16_e32 v0, v21, v0
	v_pk_fma_f16 v21, 0xb08e3abb, v33, v48 op_sel_hi:[1,0,1]
	v_pk_add_f16 v20, v23, v45
	v_pk_add_f16 v22, v22, v44
	v_pk_fma_f16 v23, 0xbbad36a6, v32, v46 op_sel_hi:[1,0,1] neg_lo:[0,0,1] neg_hi:[0,0,1]
	v_pk_mul_f16 v44, 0xb93d3abb, v34 op_sel_hi:[1,0]
	v_pk_mul_f16 v46, 0x3abbb08e, v32 op_sel_hi:[1,0]
	v_pk_add_f16 v45, v21, v20
	v_pk_fma_f16 v20, 0xb08e3abb, v33, v48 op_sel_hi:[1,0,1] neg_lo:[0,0,1] neg_hi:[0,0,1]
	v_pk_add_f16 v6, v23, v22
	v_sub_f16_e32 v21, v44, v31
	v_pk_mul_f16 v22, 0xb08e36a6, v36 op_sel_hi:[1,0]
	v_pk_mul_f16 v23, 0x3bebbb47, v28 op_sel_hi:[1,0]
	;; [unrolled: 1-line block ×3, first 2 shown]
	v_pk_add_f16 v6, v20, v6
	v_add_f16_sdwa v20, v21, v4 dst_sel:DWORD dst_unused:UNUSED_PAD src0_sel:DWORD src1_sel:WORD_1
	v_pk_fma_f16 v21, 0xb93d3abb, v34, v31 op_sel_hi:[1,0,1]
	v_sub_f16_e32 v34, v22, v23
	v_alignbit_b32 v29, v29, v44, 16
	v_mul_f16_e32 v27, 0xb93d, v32
	v_fmamk_f16 v50, v32, 0xb93d, v41
	v_pk_add_f16 v21, v21, v4 op_sel:[0,1]
	v_add_f16_e32 v20, v34, v20
	v_pk_fma_f16 v34, 0xb08e36a6, v36, v23 op_sel_hi:[1,0,1]
	v_sub_f16_e32 v36, v46, v26
	v_pk_fma_f16 v31, 0x3abbb08e, v32, v26 op_sel_hi:[1,0,1]
	v_sub_f16_e32 v32, v48, v25
	v_pk_add_f16 v29, v29, v30 neg_lo:[0,1] neg_hi:[0,1]
	v_pk_add_f16 v21, v34, v21
	v_add_f16_e32 v20, v36, v20
	v_alignbit_b32 v22, v35, v22, 16
	v_alignbit_b32 v23, v40, v23, 16
	v_mul_f16_e32 v42, 0x36a6, v33
	v_pk_add_f16 v21, v31, v21
	v_add_f16_e32 v30, v32, v20
	v_pk_fma_f16 v20, 0xbbadb93d, v33, v25 op_sel_hi:[1,0,1]
	v_pk_add_f16 v4, v29, v4 op_sel:[0,1]
	v_pk_add_f16 v22, v22, v23 neg_lo:[0,1] neg_hi:[0,1]
	v_alignbit_b32 v23, v27, v46, 16
	v_alignbit_b32 v26, v41, v26, 16
	v_fmamk_f16 v24, v33, 0x36a6, v43
	v_add_f16_e32 v47, v50, v47
	v_pk_mul_f16 v28, 0x3853ba0c, v5 op_sel_hi:[1,0]
	v_pk_add_f16 v20, v20, v21
	v_pk_mul_f16 v21, 0x36a6bbad, v7 op_sel_hi:[1,0]
	v_pk_mul_f16 v27, 0x3b47b482, v5 op_sel_hi:[1,0]
	v_pk_add_f16 v4, v22, v4
	v_pk_add_f16 v22, v23, v26 neg_lo:[0,1] neg_hi:[0,1]
	v_alignbit_b32 v23, v42, v48, 16
	v_alignbit_b32 v25, v43, v25, 16
	v_mul_f16_e32 v26, 0xb08e, v7
	v_mul_f16_e32 v5, 0xbbeb, v5
	v_add_f16_e32 v24, v24, v47
	v_pk_fma_f16 v47, 0x3abbb93d, v7, v28 op_sel_hi:[1,0,1] neg_lo:[0,0,1] neg_hi:[0,0,1]
	v_pk_fma_f16 v29, 0x36a6bbad, v7, v27 op_sel_hi:[1,0,1]
	v_pk_add_f16 v4, v22, v4
	v_pk_add_f16 v22, v23, v25 neg_lo:[0,1] neg_hi:[0,1]
	v_alignbit_b32 v23, v26, v21, 16
	v_alignbit_b32 v25, v5, v27, 16
	v_fmac_f16_e32 v5, 0xb08e, v7
	v_sub_f16_e32 v27, v21, v27
	v_pk_add_f16 v20, v29, v20
	v_pk_add_f16 v4, v22, v4
	v_pk_add_f16 v23, v23, v25 neg_lo:[0,1] neg_hi:[0,1]
	v_add_f16_e32 v26, v5, v24
	v_pk_add_f16 v21, v47, v6
	v_add_f16_e32 v22, v27, v30
	v_pk_fma_f16 v24, 0x3abbb93d, v7, v28 op_sel_hi:[1,0,1]
	v_pk_add_f16 v6, v23, v4
	v_bfi_b32 v7, 0xffff, v26, v20
	v_alignbit_b32 v5, v21, v21, 16
	v_pack_b32_f16 v4, v0, v22
	v_pk_add_f16 v25, v24, v45
	s_waitcnt lgkmcnt(0)
	s_barrier
	buffer_gl0_inv
	ds_write_b128 v39, v[4:7]
	ds_write_b32 v39, v25 offset:16
	ds_write_b16 v39, v20 offset:20
	s_waitcnt lgkmcnt(0)
	s_barrier
	buffer_gl0_inv
                                        ; implicit-def: $vgpr24
                                        ; implicit-def: $vgpr23
                                        ; implicit-def: $vgpr5
                                        ; implicit-def: $vgpr4
                                        ; implicit-def: $vgpr7
	s_and_saveexec_b32 s1, s0
	s_cbranch_execnz .LBB0_16
; %bb.14:
	s_or_b32 exec_lo, exec_lo, s1
	s_and_b32 s0, vcc_lo, s0
	s_and_saveexec_b32 s1, s0
	s_cbranch_execnz .LBB0_17
.LBB0_15:
	s_endpgm
.LBB0_16:
	v_add3_u32 v5, 0, v38, v37
	v_add3_u32 v0, 0, v37, v38
	ds_read_u16 v21, v5 offset:66
	ds_read_u16 v20, v5 offset:220
	ds_read_u16 v6, v5 offset:88
	ds_read_u16 v25, v5 offset:176
	ds_read_u16 v26, v5 offset:132
	ds_read_u16 v4, v5 offset:308
	ds_read_u16 v0, v0
	ds_read_u16 v22, v5 offset:22
	s_waitcnt lgkmcnt(7)
	ds_read_u16_d16_hi v21, v5 offset:44
	s_waitcnt lgkmcnt(7)
	ds_read_u16_d16_hi v20, v5 offset:154
	ds_read_u16 v24, v5 offset:242
	ds_read_u16 v7, v5 offset:330
	s_waitcnt lgkmcnt(9)
	ds_read_u16_d16_hi v6, v5 offset:110
	ds_read_u16 v23, v5 offset:264
	s_waitcnt lgkmcnt(10)
	ds_read_u16_d16_hi v25, v5 offset:198
	ds_read_u16 v5, v5 offset:286
	s_or_b32 exec_lo, exec_lo, s1
	s_and_b32 s0, vcc_lo, s0
	s_and_saveexec_b32 s1, s0
	s_cbranch_execz .LBB0_15
.LBB0_17:
	v_mul_u32_u24_e32 v27, 15, v10
	s_waitcnt lgkmcnt(6)
	v_lshrrev_b32_e32 v48, 16, v20
	v_lshrrev_b32_e32 v47, 16, v3
	;; [unrolled: 1-line block ×4, first 2 shown]
	v_lshlrev_b32_e32 v39, 2, v27
	s_waitcnt lgkmcnt(3)
	v_lshrrev_b32_e32 v46, 16, v6
	s_waitcnt lgkmcnt(1)
	v_lshrrev_b32_e32 v44, 16, v25
	v_lshrrev_b32_e32 v45, 16, v14
	;; [unrolled: 1-line block ×3, first 2 shown]
	s_clause 0x3
	global_load_dwordx4 v[27:30], v39, s[8:9] offset:16
	global_load_dwordx4 v[31:34], v39, s[8:9]
	global_load_dwordx4 v[35:38], v39, s[8:9] offset:32
	global_load_dwordx3 v[39:41], v39, s[8:9] offset:48
	v_add_nc_u32_e32 v55, 11, v10
	v_add_nc_u32_e32 v57, 44, v10
	v_mad_u64_u32 v[42:43], null, s2, v10, 0
	s_waitcnt vmcnt(3)
	v_mul_f16_sdwa v51, v26, v28 dst_sel:DWORD dst_unused:UNUSED_PAD src0_sel:DWORD src1_sel:WORD_1
	v_mul_f16_sdwa v53, v48, v29 dst_sel:DWORD dst_unused:UNUSED_PAD src0_sel:DWORD src1_sel:WORD_1
	v_mul_f16_sdwa v54, v47, v29 dst_sel:DWORD dst_unused:UNUSED_PAD src0_sel:DWORD src1_sel:WORD_1
	s_waitcnt vmcnt(2)
	v_mul_f16_sdwa v60, v6, v34 dst_sel:DWORD dst_unused:UNUSED_PAD src0_sel:DWORD src1_sel:WORD_1
	v_mul_f16_sdwa v61, v21, v33 dst_sel:DWORD dst_unused:UNUSED_PAD src0_sel:DWORD src1_sel:WORD_1
	v_fmac_f16_e32 v51, v3, v28
	v_mul_f16_sdwa v3, v3, v28 dst_sel:DWORD dst_unused:UNUSED_PAD src0_sel:DWORD src1_sel:WORD_1
	v_fmac_f16_e32 v53, v47, v29
	v_mul_f16_sdwa v47, v25, v30 dst_sel:DWORD dst_unused:UNUSED_PAD src0_sel:DWORD src1_sel:WORD_1
	v_fma_f16 v48, v48, v29, -v54
	v_mul_f16_sdwa v56, v46, v27 dst_sel:DWORD dst_unused:UNUSED_PAD src0_sel:DWORD src1_sel:WORD_1
	v_fma_f16 v54, v26, v28, -v3
	v_mul_f16_sdwa v3, v49, v34 dst_sel:DWORD dst_unused:UNUSED_PAD src0_sel:DWORD src1_sel:WORD_1
	v_fmac_f16_e32 v47, v19, v30
	v_mul_f16_sdwa v19, v19, v30 dst_sel:DWORD dst_unused:UNUSED_PAD src0_sel:DWORD src1_sel:WORD_1
	v_mul_f16_sdwa v63, v50, v32 dst_sel:DWORD dst_unused:UNUSED_PAD src0_sel:DWORD src1_sel:WORD_1
	v_fmac_f16_e32 v61, v13, v33
	v_fma_f16 v59, v6, v34, -v3
	v_mul_f16_sdwa v6, v52, v32 dst_sel:DWORD dst_unused:UNUSED_PAD src0_sel:DWORD src1_sel:WORD_1
	v_fma_f16 v58, v25, v30, -v19
	v_mul_f16_sdwa v25, v13, v33 dst_sel:DWORD dst_unused:UNUSED_PAD src0_sel:DWORD src1_sel:WORD_1
	v_add_nc_u32_e32 v29, 22, v10
	v_fmac_f16_e32 v56, v18, v27
	v_mul_f16_sdwa v18, v18, v27 dst_sel:DWORD dst_unused:UNUSED_PAD src0_sel:DWORD src1_sel:WORD_1
	v_mul_f16_sdwa v3, v12, v31 dst_sel:DWORD dst_unused:UNUSED_PAD src0_sel:DWORD src1_sel:WORD_1
	v_fma_f16 v62, v21, v33, -v25
	v_fma_f16 v33, v50, v32, -v6
	s_waitcnt vmcnt(1)
	v_mul_f16_sdwa v6, v45, v35 dst_sel:DWORD dst_unused:UNUSED_PAD src0_sel:DWORD src1_sel:WORD_1
	v_mul_f16_sdwa v65, v22, v31 dst_sel:DWORD dst_unused:UNUSED_PAD src0_sel:DWORD src1_sel:WORD_1
	v_fmac_f16_e32 v63, v52, v32
	v_fmac_f16_e32 v60, v49, v34
	v_mul_f16_sdwa v26, v16, v38 dst_sel:DWORD dst_unused:UNUSED_PAD src0_sel:DWORD src1_sel:WORD_1
	v_fma_f16 v49, v44, v35, -v6
	v_mul_f16_sdwa v44, v44, v35 dst_sel:DWORD dst_unused:UNUSED_PAD src0_sel:DWORD src1_sel:WORD_1
	v_mul_f16_sdwa v52, v23, v38 dst_sel:DWORD dst_unused:UNUSED_PAD src0_sel:DWORD src1_sel:WORD_1
	v_fma_f16 v46, v46, v27, -v18
	v_mad_u64_u32 v[18:19], null, s2, v55, 0
	v_fma_f16 v64, v22, v31, -v3
	v_mad_u64_u32 v[21:22], null, s2, v29, 0
	v_add_nc_u32_e32 v28, 33, v10
	v_fmac_f16_e32 v65, v12, v31
	v_mul_f16_sdwa v3, v17, v37 dst_sel:DWORD dst_unused:UNUSED_PAD src0_sel:DWORD src1_sel:WORD_1
	v_mul_f16_sdwa v31, v24, v37 dst_sel:DWORD dst_unused:UNUSED_PAD src0_sel:DWORD src1_sel:WORD_1
	;; [unrolled: 1-line block ×4, first 2 shown]
	v_fma_f16 v50, v23, v38, -v26
	v_fmac_f16_e32 v44, v45, v35
	v_fmac_f16_e32 v52, v16, v38
	s_waitcnt vmcnt(0) lgkmcnt(0)
	v_mul_f16_sdwa v35, v5, v39 dst_sel:DWORD dst_unused:UNUSED_PAD src0_sel:DWORD src1_sel:WORD_1
	v_mul_f16_sdwa v38, v4, v40 dst_sel:DWORD dst_unused:UNUSED_PAD src0_sel:DWORD src1_sel:WORD_1
	v_mad_u64_u32 v[12:13], null, s2, v28, 0
	v_fma_f16 v32, v24, v37, -v3
	v_fmac_f16_e32 v31, v17, v37
	v_fma_f16 v37, v20, v36, -v25
	v_mad_u64_u32 v[24:25], null, s2, v57, 0
	v_fmac_f16_e32 v34, v14, v36
	v_mul_f16_sdwa v6, v2, v40 dst_sel:DWORD dst_unused:UNUSED_PAD src0_sel:DWORD src1_sel:WORD_1
	v_fmac_f16_e32 v35, v1, v39
	v_mul_f16_sdwa v14, v1, v39 dst_sel:DWORD dst_unused:UNUSED_PAD src0_sel:DWORD src1_sel:WORD_1
	v_mov_b32_e32 v1, v19
	v_fmac_f16_e32 v38, v2, v40
	v_mov_b32_e32 v2, v22
	v_mul_f16_sdwa v36, v7, v41 dst_sel:DWORD dst_unused:UNUSED_PAD src0_sel:DWORD src1_sel:WORD_1
	v_mul_f16_sdwa v3, v15, v41 dst_sel:DWORD dst_unused:UNUSED_PAD src0_sel:DWORD src1_sel:WORD_1
	v_add_nc_u32_e32 v30, 55, v10
	v_fma_f16 v40, v4, v40, -v6
	v_fma_f16 v39, v5, v39, -v14
	v_mad_u64_u32 v[5:6], null, s3, v55, v[1:2]
	v_fmac_f16_e32 v36, v15, v41
	v_fma_f16 v41, v7, v41, -v3
	v_mov_b32_e32 v3, v13
	v_mov_b32_e32 v4, v25
	v_mad_u64_u32 v[26:27], null, s2, v30, 0
	v_mov_b32_e32 v19, v5
	v_mad_u64_u32 v[1:2], null, s3, v29, v[2:3]
	v_mad_u64_u32 v[6:7], null, s3, v28, v[3:4]
	;; [unrolled: 1-line block ×3, first 2 shown]
	v_mov_b32_e32 v2, v43
	v_mov_b32_e32 v4, v27
	;; [unrolled: 1-line block ×3, first 2 shown]
	v_add_co_u32 v45, vcc_lo, s12, v8
	v_add_co_ci_u32_e32 v55, vcc_lo, s13, v9, vcc_lo
	v_mad_u64_u32 v[13:14], null, s3, v10, v[2:3]
	v_mad_u64_u32 v[14:15], null, s3, v30, v[4:5]
	v_add_nc_u32_e32 v4, 0x42, v10
	v_mov_b32_e32 v25, v3
	v_lshlrev_b64 v[17:18], 2, v[18:19]
	v_lshlrev_b64 v[19:20], 2, v[21:22]
	v_mov_b32_e32 v43, v13
	v_mad_u64_u32 v[15:16], null, s2, v4, 0
	v_mov_b32_e32 v13, v6
	v_mov_b32_e32 v27, v14
	v_add_nc_u32_e32 v14, 0x6e, v10
	v_lshlrev_b64 v[8:9], 2, v[42:43]
	v_lshlrev_b64 v[21:22], 2, v[24:25]
	v_lshlrev_b64 v[12:13], 2, v[12:13]
	v_mov_b32_e32 v2, v16
	v_add_nc_u32_e32 v16, 0x58, v10
	v_lshlrev_b64 v[23:24], 2, v[26:27]
	v_sub_f16_e32 v31, v61, v31
	v_sub_f16_e32 v34, v63, v34
	v_mad_u64_u32 v[4:5], null, s3, v4, v[2:3]
	v_add_nc_u32_e32 v5, 0x4d, v10
	v_sub_f16_e32 v40, v54, v40
	v_sub_f16_e32 v37, v33, v37
	;; [unrolled: 1-line block ×3, first 2 shown]
	v_fma_f16 v57, v63, 2.0, -v34
	v_mad_u64_u32 v[1:2], null, s2, v5, 0
	v_fma_f16 v33, v33, 2.0, -v37
	v_fma_f16 v51, v51, 2.0, -v38
	v_sub_f16_e32 v38, v37, v38
	v_mad_u64_u32 v[5:6], null, s3, v5, v[2:3]
	v_mad_u64_u32 v[6:7], null, s2, v16, 0
	v_fma_f16 v37, v37, 2.0, -v38
	v_sub_f16_e32 v51, v57, v51
	v_mov_b32_e32 v2, v7
	v_add_nc_u32_e32 v7, 0x63, v10
	v_mad_u64_u32 v[28:29], null, s3, v16, v[2:3]
	v_mov_b32_e32 v16, v4
	v_mad_u64_u32 v[3:4], null, s2, v7, 0
	v_mov_b32_e32 v2, v5
	v_lshlrev_b64 v[1:2], 2, v[1:2]
	v_mad_u64_u32 v[4:5], null, s3, v7, v[4:5]
	v_mov_b32_e32 v7, v28
	v_mad_u64_u32 v[28:29], null, s2, v14, 0
	v_lshlrev_b64 v[3:4], 2, v[3:4]
	v_mov_b32_e32 v5, v29
	v_mad_u64_u32 v[29:30], null, s3, v14, v[5:6]
	v_lshlrev_b64 v[5:6], 2, v[6:7]
	v_add_co_u32 v7, vcc_lo, v45, v8
	v_add_co_ci_u32_e32 v8, vcc_lo, v55, v9, vcc_lo
	v_lshlrev_b64 v[14:15], 2, v[15:16]
	v_add_co_u32 v16, vcc_lo, v45, v17
	v_add_co_ci_u32_e32 v17, vcc_lo, v55, v18, vcc_lo
	v_add_co_u32 v18, vcc_lo, v45, v19
	v_add_co_ci_u32_e32 v19, vcc_lo, v55, v20, vcc_lo
	;; [unrolled: 2-line block ×7, first 2 shown]
	v_lshlrev_b64 v[25:26], 2, v[28:29]
	v_add_co_u32 v5, vcc_lo, v45, v5
	v_add_co_ci_u32_e32 v6, vcc_lo, v55, v6, vcc_lo
	v_add_nc_u32_e32 v30, 0x79, v10
	v_add_co_u32 v3, vcc_lo, v45, v3
	v_add_co_ci_u32_e32 v4, vcc_lo, v55, v4, vcc_lo
	v_add_co_u32 v24, vcc_lo, v45, v25
	v_add_co_ci_u32_e32 v25, vcc_lo, v55, v26, vcc_lo
	v_mad_u64_u32 v[26:27], null, s2, v30, 0
	v_sub_f16_e32 v29, v62, v32
	v_sub_f16_e32 v32, v48, v41
	v_mov_b32_e32 v9, v27
	v_fma_f16 v41, v48, 2.0, -v32
	v_add_f16_e32 v32, v31, v32
	v_fma_f16 v48, v62, 2.0, -v29
	v_mad_u64_u32 v[27:28], null, s3, v30, v[9:10]
	v_sub_f16_e32 v9, v64, v49
	v_sub_f16_e32 v28, v56, v35
	;; [unrolled: 1-line block ×5, first 2 shown]
	v_fma_f16 v44, v61, 2.0, -v31
	v_fma_f16 v39, v56, 2.0, -v28
	v_sub_f16_e32 v28, v9, v28
	v_fma_f16 v42, v53, 2.0, -v30
	v_sub_f16_e32 v30, v29, v30
	v_fma_f16 v43, v46, 2.0, -v36
	v_add_f16_e32 v36, v35, v36
	v_fma_f16 v31, v31, 2.0, -v32
	v_sub_f16_e32 v49, v0, v58
	v_fmamk_f16 v46, v30, 0x39a8, v28
	v_fma_f16 v29, v29, 2.0, -v30
	v_fma_f16 v53, v54, 2.0, -v40
	v_add_f16_e32 v40, v34, v40
	v_fma_f16 v58, v65, 2.0, -v35
	v_fmac_f16_e32 v46, 0xb9a8, v32
	v_fmamk_f16 v32, v32, 0x39a8, v36
	v_fma_f16 v35, v35, 2.0, -v36
	v_fma_f16 v34, v34, 2.0, -v40
	;; [unrolled: 1-line block ×3, first 2 shown]
	v_sub_f16_e32 v53, v33, v53
	v_fmac_f16_e32 v32, 0x39a8, v30
	v_sub_f16_e32 v30, v11, v47
	v_sub_f16_e32 v47, v59, v50
	;; [unrolled: 1-line block ×4, first 2 shown]
	v_fma_f16 v36, v36, 2.0, -v32
	v_fma_f16 v11, v11, 2.0, -v30
	;; [unrolled: 1-line block ×3, first 2 shown]
	v_add_f16_e32 v47, v30, v47
	v_fma_f16 v54, v60, 2.0, -v50
	v_sub_f16_e32 v50, v49, v50
	v_sub_f16_e32 v41, v48, v41
	;; [unrolled: 1-line block ×3, first 2 shown]
	v_fmamk_f16 v56, v40, 0x39a8, v47
	v_sub_f16_e32 v52, v0, v52
	v_fma_f16 v33, v33, 2.0, -v53
	v_fma_f16 v48, v48, 2.0, -v41
	v_add_f16_e32 v41, v39, v41
	v_fmac_f16_e32 v56, 0x39a8, v38
	v_fmamk_f16 v38, v38, 0x39a8, v50
	v_fma_f16 v44, v44, 2.0, -v42
	v_fma_f16 v58, v58, 2.0, -v39
	;; [unrolled: 1-line block ×4, first 2 shown]
	v_fmac_f16_e32 v38, 0xb9a8, v40
	v_fma_f16 v40, v64, 2.0, -v9
	v_fma_f16 v9, v9, 2.0, -v28
	;; [unrolled: 1-line block ×3, first 2 shown]
	v_sub_f16_e32 v44, v58, v44
	v_sub_f16_e32 v33, v0, v33
	v_fmamk_f16 v59, v29, 0xb9a8, v9
	v_fma_f16 v0, v0, 2.0, -v33
	v_fmac_f16_e32 v59, 0xb9a8, v31
	v_fmamk_f16 v31, v31, 0xb9a8, v35
	v_fma_f16 v9, v9, 2.0, -v59
	v_fmac_f16_e32 v31, 0x39a8, v29
	v_fma_f16 v29, v30, 2.0, -v47
	v_fma_f16 v30, v49, 2.0, -v50
	v_fmamk_f16 v49, v34, 0xb9a8, v29
	v_fmac_f16_e32 v49, 0x39a8, v37
	v_fmamk_f16 v37, v37, 0xb9a8, v30
	v_fmac_f16_e32 v37, 0xb9a8, v34
	v_fmamk_f16 v34, v32, 0x3b64, v56
	v_fma_f16 v30, v30, 2.0, -v37
	v_fmac_f16_e32 v34, 0x361f, v46
	v_fmamk_f16 v46, v46, 0x3b64, v38
	v_fmac_f16_e32 v46, 0xb61f, v32
	v_sub_f16_e32 v32, v40, v43
	v_sub_f16_e32 v43, v11, v54
	v_fma_f16 v54, v57, 2.0, -v51
	v_sub_f16_e32 v51, v52, v51
	v_sub_f16_e32 v42, v32, v42
	v_add_f16_e32 v53, v43, v53
	v_fma_f16 v40, v40, 2.0, -v32
	v_fma_f16 v11, v11, 2.0, -v43
	;; [unrolled: 1-line block ×3, first 2 shown]
	v_fmamk_f16 v57, v41, 0x39a8, v53
	v_fmac_f16_e32 v57, 0x39a8, v42
	v_fmamk_f16 v42, v42, 0x39a8, v51
	v_fmac_f16_e32 v42, 0xb9a8, v41
	v_fma_f16 v41, v47, 2.0, -v56
	v_fma_f16 v47, v50, 2.0, -v38
	v_fma_f16 v38, v38, 2.0, -v46
	v_fmamk_f16 v50, v36, 0xb61f, v41
	v_fmamk_f16 v60, v28, 0xb61f, v47
	v_fmac_f16_e32 v50, 0x3b64, v28
	v_fmac_f16_e32 v60, 0xbb64, v36
	v_fmamk_f16 v36, v31, 0x361f, v49
	v_fma_f16 v28, v35, 2.0, -v31
	v_fma_f16 v35, v52, 2.0, -v51
	v_fma_f16 v51, v51, 2.0, -v42
	v_fma_f16 v41, v41, 2.0, -v50
	v_fmac_f16_e32 v36, 0x3b64, v59
	v_fmamk_f16 v59, v59, 0x361f, v37
	v_fma_f16 v47, v47, 2.0, -v60
	v_fmac_f16_e32 v59, 0xbb64, v31
	v_fma_f16 v31, v43, 2.0, -v53
	v_pack_b32_f16 v41, v41, v47
	v_fma_f16 v37, v37, 2.0, -v59
	v_fmamk_f16 v43, v39, 0xb9a8, v31
	v_fmac_f16_e32 v43, 0x39a8, v32
	v_fmamk_f16 v32, v32, 0xb9a8, v35
	v_fma_f16 v31, v31, 2.0, -v43
	v_fmac_f16_e32 v32, 0xb9a8, v39
	v_fma_f16 v39, v29, 2.0, -v49
	v_sub_f16_e32 v29, v11, v54
	v_add_nc_u32_e32 v54, 0x84, v10
	v_fma_f16 v35, v35, 2.0, -v32
	v_fmamk_f16 v52, v28, 0xbb64, v39
	v_fma_f16 v11, v11, 2.0, -v29
	v_pack_b32_f16 v32, v43, v32
	v_fma_f16 v43, v49, 2.0, -v36
	v_pack_b32_f16 v35, v31, v35
	v_fmac_f16_e32 v52, 0x361f, v9
	v_fmamk_f16 v9, v9, 0xbb64, v30
	v_fma_f16 v39, v39, 2.0, -v52
	v_fmac_f16_e32 v9, 0xb61f, v28
	v_sub_f16_e32 v28, v40, v48
	v_fma_f16 v49, v30, 2.0, -v9
	v_fma_f16 v40, v40, 2.0, -v28
	v_add_f16_e32 v48, v28, v29
	v_fma_f16 v28, v58, 2.0, -v44
	v_sub_f16_e32 v44, v33, v44
	v_pack_b32_f16 v39, v39, v49
	v_pack_b32_f16 v9, v52, v9
	v_fma_f16 v29, v29, 2.0, -v48
	v_sub_f16_e32 v28, v11, v28
	v_fma_f16 v33, v33, 2.0, -v44
	v_fma_f16 v11, v11, 2.0, -v28
	v_pack_b32_f16 v33, v29, v33
	v_fma_f16 v29, v53, 2.0, -v57
	v_fma_f16 v53, v56, 2.0, -v34
	v_pack_b32_f16 v51, v29, v51
	v_sub_f16_e32 v29, v0, v40
	v_pack_b32_f16 v38, v53, v38
	v_add_nc_u32_e32 v40, 0x8f, v10
	v_fma_f16 v0, v0, 2.0, -v29
	v_pack_b32_f16 v53, v28, v29
	v_mad_u64_u32 v[28:29], null, s2, v54, 0
	v_mad_u64_u32 v[30:31], null, s2, v40, 0
	v_pack_b32_f16 v11, v11, v0
	v_mov_b32_e32 v0, v29
	v_pack_b32_f16 v29, v43, v37
	global_store_dword v[7:8], v11, off
	global_store_dword v[16:17], v39, off
	;; [unrolled: 1-line block ×10, first 2 shown]
	v_add_nc_u32_e32 v9, 0x9a, v10
	v_add_nc_u32_e32 v12, 0xa5, v10
	v_mad_u64_u32 v[0:1], null, s3, v54, v[0:1]
	v_mov_b32_e32 v1, v31
	v_mad_u64_u32 v[2:3], null, s2, v9, 0
	v_mad_u64_u32 v[7:8], null, s2, v12, 0
	v_pack_b32_f16 v14, v50, v60
	v_mov_b32_e32 v29, v0
	global_store_dword v[24:25], v32, off
	v_mov_b32_e32 v0, v3
	v_mad_u64_u32 v[4:5], null, s3, v40, v[1:2]
	v_lshlrev_b64 v[5:6], 2, v[26:27]
	v_mad_u64_u32 v[0:1], null, s3, v9, v[0:1]
	v_mov_b32_e32 v1, v8
	v_lshlrev_b64 v[8:9], 2, v[28:29]
	v_mov_b32_e32 v31, v4
	v_add_co_u32 v4, vcc_lo, v45, v5
	v_mad_u64_u32 v[12:13], null, s3, v12, v[1:2]
	v_mov_b32_e32 v3, v0
	v_add_co_ci_u32_e32 v5, vcc_lo, v55, v6, vcc_lo
	v_lshlrev_b64 v[10:11], 2, v[30:31]
	v_add_co_u32 v0, vcc_lo, v45, v8
	v_mov_b32_e32 v8, v12
	v_lshlrev_b64 v[2:3], 2, v[2:3]
	v_add_co_ci_u32_e32 v1, vcc_lo, v55, v9, vcc_lo
	v_add_co_u32 v9, vcc_lo, v45, v10
	v_lshlrev_b64 v[6:7], 2, v[7:8]
	v_add_co_ci_u32_e32 v10, vcc_lo, v55, v11, vcc_lo
	v_add_co_u32 v2, vcc_lo, v45, v2
	v_pack_b32_f16 v13, v48, v44
	v_add_co_ci_u32_e32 v3, vcc_lo, v55, v3, vcc_lo
	v_pack_b32_f16 v11, v36, v59
	v_add_co_u32 v6, vcc_lo, v45, v6
	v_pack_b32_f16 v8, v57, v42
	v_add_co_ci_u32_e32 v7, vcc_lo, v55, v7, vcc_lo
	v_pack_b32_f16 v12, v34, v46
	global_store_dword v[4:5], v14, off
	global_store_dword v[0:1], v13, off
	;; [unrolled: 1-line block ×5, first 2 shown]
	s_endpgm
	.section	.rodata,"a",@progbits
	.p2align	6, 0x0
	.amdhsa_kernel fft_rtc_back_len176_factors_11_16_wgs_64_tpt_16_halfLds_half_ip_CI_sbrr_dirReg
		.amdhsa_group_segment_fixed_size 0
		.amdhsa_private_segment_fixed_size 0
		.amdhsa_kernarg_size 88
		.amdhsa_user_sgpr_count 6
		.amdhsa_user_sgpr_private_segment_buffer 1
		.amdhsa_user_sgpr_dispatch_ptr 0
		.amdhsa_user_sgpr_queue_ptr 0
		.amdhsa_user_sgpr_kernarg_segment_ptr 1
		.amdhsa_user_sgpr_dispatch_id 0
		.amdhsa_user_sgpr_flat_scratch_init 0
		.amdhsa_user_sgpr_private_segment_size 0
		.amdhsa_wavefront_size32 1
		.amdhsa_uses_dynamic_stack 0
		.amdhsa_system_sgpr_private_segment_wavefront_offset 0
		.amdhsa_system_sgpr_workgroup_id_x 1
		.amdhsa_system_sgpr_workgroup_id_y 0
		.amdhsa_system_sgpr_workgroup_id_z 0
		.amdhsa_system_sgpr_workgroup_info 0
		.amdhsa_system_vgpr_workitem_id 0
		.amdhsa_next_free_vgpr 66
		.amdhsa_next_free_sgpr 23
		.amdhsa_reserve_vcc 1
		.amdhsa_reserve_flat_scratch 0
		.amdhsa_float_round_mode_32 0
		.amdhsa_float_round_mode_16_64 0
		.amdhsa_float_denorm_mode_32 3
		.amdhsa_float_denorm_mode_16_64 3
		.amdhsa_dx10_clamp 1
		.amdhsa_ieee_mode 1
		.amdhsa_fp16_overflow 0
		.amdhsa_workgroup_processor_mode 1
		.amdhsa_memory_ordered 1
		.amdhsa_forward_progress 0
		.amdhsa_shared_vgpr_count 0
		.amdhsa_exception_fp_ieee_invalid_op 0
		.amdhsa_exception_fp_denorm_src 0
		.amdhsa_exception_fp_ieee_div_zero 0
		.amdhsa_exception_fp_ieee_overflow 0
		.amdhsa_exception_fp_ieee_underflow 0
		.amdhsa_exception_fp_ieee_inexact 0
		.amdhsa_exception_int_div_zero 0
	.end_amdhsa_kernel
	.text
.Lfunc_end0:
	.size	fft_rtc_back_len176_factors_11_16_wgs_64_tpt_16_halfLds_half_ip_CI_sbrr_dirReg, .Lfunc_end0-fft_rtc_back_len176_factors_11_16_wgs_64_tpt_16_halfLds_half_ip_CI_sbrr_dirReg
                                        ; -- End function
	.section	.AMDGPU.csdata,"",@progbits
; Kernel info:
; codeLenInByte = 6932
; NumSgprs: 25
; NumVgprs: 66
; ScratchSize: 0
; MemoryBound: 0
; FloatMode: 240
; IeeeMode: 1
; LDSByteSize: 0 bytes/workgroup (compile time only)
; SGPRBlocks: 3
; VGPRBlocks: 8
; NumSGPRsForWavesPerEU: 25
; NumVGPRsForWavesPerEU: 66
; Occupancy: 12
; WaveLimiterHint : 1
; COMPUTE_PGM_RSRC2:SCRATCH_EN: 0
; COMPUTE_PGM_RSRC2:USER_SGPR: 6
; COMPUTE_PGM_RSRC2:TRAP_HANDLER: 0
; COMPUTE_PGM_RSRC2:TGID_X_EN: 1
; COMPUTE_PGM_RSRC2:TGID_Y_EN: 0
; COMPUTE_PGM_RSRC2:TGID_Z_EN: 0
; COMPUTE_PGM_RSRC2:TIDIG_COMP_CNT: 0
	.text
	.p2alignl 6, 3214868480
	.fill 48, 4, 3214868480
	.type	__hip_cuid_39d9df9de9d30985,@object ; @__hip_cuid_39d9df9de9d30985
	.section	.bss,"aw",@nobits
	.globl	__hip_cuid_39d9df9de9d30985
__hip_cuid_39d9df9de9d30985:
	.byte	0                               ; 0x0
	.size	__hip_cuid_39d9df9de9d30985, 1

	.ident	"AMD clang version 19.0.0git (https://github.com/RadeonOpenCompute/llvm-project roc-6.4.0 25133 c7fe45cf4b819c5991fe208aaa96edf142730f1d)"
	.section	".note.GNU-stack","",@progbits
	.addrsig
	.addrsig_sym __hip_cuid_39d9df9de9d30985
	.amdgpu_metadata
---
amdhsa.kernels:
  - .args:
      - .actual_access:  read_only
        .address_space:  global
        .offset:         0
        .size:           8
        .value_kind:     global_buffer
      - .offset:         8
        .size:           8
        .value_kind:     by_value
      - .actual_access:  read_only
        .address_space:  global
        .offset:         16
        .size:           8
        .value_kind:     global_buffer
      - .actual_access:  read_only
        .address_space:  global
        .offset:         24
        .size:           8
        .value_kind:     global_buffer
      - .offset:         32
        .size:           8
        .value_kind:     by_value
      - .actual_access:  read_only
        .address_space:  global
        .offset:         40
        .size:           8
        .value_kind:     global_buffer
      - .actual_access:  read_only
        .address_space:  global
        .offset:         48
        .size:           8
        .value_kind:     global_buffer
      - .offset:         56
        .size:           4
        .value_kind:     by_value
      - .actual_access:  read_only
        .address_space:  global
        .offset:         64
        .size:           8
        .value_kind:     global_buffer
      - .actual_access:  read_only
        .address_space:  global
        .offset:         72
        .size:           8
        .value_kind:     global_buffer
      - .address_space:  global
        .offset:         80
        .size:           8
        .value_kind:     global_buffer
    .group_segment_fixed_size: 0
    .kernarg_segment_align: 8
    .kernarg_segment_size: 88
    .language:       OpenCL C
    .language_version:
      - 2
      - 0
    .max_flat_workgroup_size: 64
    .name:           fft_rtc_back_len176_factors_11_16_wgs_64_tpt_16_halfLds_half_ip_CI_sbrr_dirReg
    .private_segment_fixed_size: 0
    .sgpr_count:     25
    .sgpr_spill_count: 0
    .symbol:         fft_rtc_back_len176_factors_11_16_wgs_64_tpt_16_halfLds_half_ip_CI_sbrr_dirReg.kd
    .uniform_work_group_size: 1
    .uses_dynamic_stack: false
    .vgpr_count:     66
    .vgpr_spill_count: 0
    .wavefront_size: 32
    .workgroup_processor_mode: 1
amdhsa.target:   amdgcn-amd-amdhsa--gfx1030
amdhsa.version:
  - 1
  - 2
...

	.end_amdgpu_metadata
